;; amdgpu-corpus repo=ROCm/rocFFT kind=compiled arch=gfx950 opt=O3
	.text
	.amdgcn_target "amdgcn-amd-amdhsa--gfx950"
	.amdhsa_code_object_version 6
	.protected	fft_rtc_fwd_len1716_factors_13_2_6_11_wgs_156_tpt_156_sp_ip_CI_unitstride_sbrr_dirReg ; -- Begin function fft_rtc_fwd_len1716_factors_13_2_6_11_wgs_156_tpt_156_sp_ip_CI_unitstride_sbrr_dirReg
	.globl	fft_rtc_fwd_len1716_factors_13_2_6_11_wgs_156_tpt_156_sp_ip_CI_unitstride_sbrr_dirReg
	.p2align	8
	.type	fft_rtc_fwd_len1716_factors_13_2_6_11_wgs_156_tpt_156_sp_ip_CI_unitstride_sbrr_dirReg,@function
fft_rtc_fwd_len1716_factors_13_2_6_11_wgs_156_tpt_156_sp_ip_CI_unitstride_sbrr_dirReg: ; @fft_rtc_fwd_len1716_factors_13_2_6_11_wgs_156_tpt_156_sp_ip_CI_unitstride_sbrr_dirReg
; %bb.0:
	s_load_dwordx2 s[8:9], s[0:1], 0x50
	s_load_dwordx4 s[4:7], s[0:1], 0x0
	s_load_dwordx2 s[10:11], s[0:1], 0x18
	v_mul_u32_u24_e32 v1, 0x1a5, v0
	v_add_u32_sdwa v6, s2, v1 dst_sel:DWORD dst_unused:UNUSED_PAD src0_sel:DWORD src1_sel:WORD_1
	v_mov_b32_e32 v4, 0
	s_waitcnt lgkmcnt(0)
	v_cmp_lt_u64_e64 s[2:3], s[6:7], 2
	v_mov_b32_e32 v7, v4
	s_and_b64 vcc, exec, s[2:3]
	v_mov_b64_e32 v[2:3], 0
	s_cbranch_vccnz .LBB0_8
; %bb.1:
	s_load_dwordx2 s[2:3], s[0:1], 0x10
	s_add_u32 s12, s10, 8
	s_addc_u32 s13, s11, 0
	s_mov_b64 s[14:15], 1
	v_mov_b64_e32 v[2:3], 0
	s_waitcnt lgkmcnt(0)
	s_add_u32 s16, s2, 8
	s_addc_u32 s17, s3, 0
.LBB0_2:                                ; =>This Inner Loop Header: Depth=1
	s_load_dwordx2 s[18:19], s[16:17], 0x0
                                        ; implicit-def: $vgpr8_vgpr9
	s_waitcnt lgkmcnt(0)
	v_or_b32_e32 v5, s19, v7
	v_cmp_ne_u64_e32 vcc, 0, v[4:5]
	s_and_saveexec_b64 s[2:3], vcc
	s_xor_b64 s[20:21], exec, s[2:3]
	s_cbranch_execz .LBB0_4
; %bb.3:                                ;   in Loop: Header=BB0_2 Depth=1
	v_cvt_f32_u32_e32 v1, s18
	v_cvt_f32_u32_e32 v5, s19
	s_sub_u32 s2, 0, s18
	s_subb_u32 s3, 0, s19
	v_fmac_f32_e32 v1, 0x4f800000, v5
	v_rcp_f32_e32 v1, v1
	s_nop 0
	v_mul_f32_e32 v1, 0x5f7ffffc, v1
	v_mul_f32_e32 v5, 0x2f800000, v1
	v_trunc_f32_e32 v5, v5
	v_fmac_f32_e32 v1, 0xcf800000, v5
	v_cvt_u32_f32_e32 v5, v5
	v_cvt_u32_f32_e32 v1, v1
	v_mul_lo_u32 v8, s2, v5
	v_mul_hi_u32 v10, s2, v1
	v_mul_lo_u32 v9, s3, v1
	v_add_u32_e32 v10, v10, v8
	v_mul_lo_u32 v12, s2, v1
	v_add_u32_e32 v13, v10, v9
	v_mul_hi_u32 v8, v1, v12
	v_mul_hi_u32 v11, v1, v13
	v_mul_lo_u32 v10, v1, v13
	v_mov_b32_e32 v9, v4
	v_lshl_add_u64 v[8:9], v[8:9], 0, v[10:11]
	v_mul_hi_u32 v11, v5, v12
	v_mul_lo_u32 v12, v5, v12
	v_add_co_u32_e32 v8, vcc, v8, v12
	v_mul_hi_u32 v10, v5, v13
	s_nop 0
	v_addc_co_u32_e32 v8, vcc, v9, v11, vcc
	v_mov_b32_e32 v9, v4
	s_nop 0
	v_addc_co_u32_e32 v11, vcc, 0, v10, vcc
	v_mul_lo_u32 v10, v5, v13
	v_lshl_add_u64 v[8:9], v[8:9], 0, v[10:11]
	v_add_co_u32_e32 v1, vcc, v1, v8
	v_mul_lo_u32 v10, s2, v1
	s_nop 0
	v_addc_co_u32_e32 v5, vcc, v5, v9, vcc
	v_mul_lo_u32 v8, s2, v5
	v_mul_hi_u32 v9, s2, v1
	v_add_u32_e32 v8, v9, v8
	v_mul_lo_u32 v9, s3, v1
	v_add_u32_e32 v12, v8, v9
	v_mul_hi_u32 v14, v5, v10
	v_mul_lo_u32 v15, v5, v10
	v_mul_hi_u32 v9, v1, v12
	v_mul_lo_u32 v8, v1, v12
	v_mul_hi_u32 v10, v1, v10
	v_mov_b32_e32 v11, v4
	v_lshl_add_u64 v[8:9], v[10:11], 0, v[8:9]
	v_add_co_u32_e32 v8, vcc, v8, v15
	v_mul_hi_u32 v13, v5, v12
	s_nop 0
	v_addc_co_u32_e32 v8, vcc, v9, v14, vcc
	v_mul_lo_u32 v10, v5, v12
	s_nop 0
	v_addc_co_u32_e32 v11, vcc, 0, v13, vcc
	v_mov_b32_e32 v9, v4
	v_lshl_add_u64 v[8:9], v[8:9], 0, v[10:11]
	v_add_co_u32_e32 v1, vcc, v1, v8
	v_mul_hi_u32 v10, v6, v1
	s_nop 0
	v_addc_co_u32_e32 v5, vcc, v5, v9, vcc
	v_mad_u64_u32 v[8:9], s[2:3], v6, v5, 0
	v_mov_b32_e32 v11, v4
	v_lshl_add_u64 v[8:9], v[10:11], 0, v[8:9]
	v_mad_u64_u32 v[12:13], s[2:3], v7, v1, 0
	v_add_co_u32_e32 v1, vcc, v8, v12
	v_mad_u64_u32 v[10:11], s[2:3], v7, v5, 0
	s_nop 0
	v_addc_co_u32_e32 v8, vcc, v9, v13, vcc
	v_mov_b32_e32 v9, v4
	s_nop 0
	v_addc_co_u32_e32 v11, vcc, 0, v11, vcc
	v_lshl_add_u64 v[8:9], v[8:9], 0, v[10:11]
	v_mul_lo_u32 v1, s19, v8
	v_mul_lo_u32 v5, s18, v9
	v_mad_u64_u32 v[10:11], s[2:3], s18, v8, 0
	v_add3_u32 v1, v11, v5, v1
	v_sub_u32_e32 v5, v7, v1
	v_mov_b32_e32 v11, s19
	v_sub_co_u32_e32 v14, vcc, v6, v10
	v_lshl_add_u64 v[12:13], v[8:9], 0, 1
	s_nop 0
	v_subb_co_u32_e64 v5, s[2:3], v5, v11, vcc
	v_subrev_co_u32_e64 v10, s[2:3], s18, v14
	v_subb_co_u32_e32 v1, vcc, v7, v1, vcc
	s_nop 0
	v_subbrev_co_u32_e64 v5, s[2:3], 0, v5, s[2:3]
	v_cmp_le_u32_e64 s[2:3], s19, v5
	v_cmp_le_u32_e32 vcc, s19, v1
	s_nop 0
	v_cndmask_b32_e64 v11, 0, -1, s[2:3]
	v_cmp_le_u32_e64 s[2:3], s18, v10
	s_nop 1
	v_cndmask_b32_e64 v10, 0, -1, s[2:3]
	v_cmp_eq_u32_e64 s[2:3], s19, v5
	s_nop 1
	v_cndmask_b32_e64 v5, v11, v10, s[2:3]
	v_lshl_add_u64 v[10:11], v[8:9], 0, 2
	v_cmp_ne_u32_e64 s[2:3], 0, v5
	s_nop 1
	v_cndmask_b32_e64 v5, v13, v11, s[2:3]
	v_cndmask_b32_e64 v11, 0, -1, vcc
	v_cmp_le_u32_e32 vcc, s18, v14
	s_nop 1
	v_cndmask_b32_e64 v13, 0, -1, vcc
	v_cmp_eq_u32_e32 vcc, s19, v1
	s_nop 1
	v_cndmask_b32_e32 v1, v11, v13, vcc
	v_cmp_ne_u32_e32 vcc, 0, v1
	v_cndmask_b32_e64 v1, v12, v10, s[2:3]
	s_nop 0
	v_cndmask_b32_e32 v9, v9, v5, vcc
	v_cndmask_b32_e32 v8, v8, v1, vcc
.LBB0_4:                                ;   in Loop: Header=BB0_2 Depth=1
	s_andn2_saveexec_b64 s[2:3], s[20:21]
	s_cbranch_execz .LBB0_6
; %bb.5:                                ;   in Loop: Header=BB0_2 Depth=1
	v_cvt_f32_u32_e32 v1, s18
	s_sub_i32 s20, 0, s18
	v_rcp_iflag_f32_e32 v1, v1
	s_nop 0
	v_mul_f32_e32 v1, 0x4f7ffffe, v1
	v_cvt_u32_f32_e32 v1, v1
	v_mul_lo_u32 v5, s20, v1
	v_mul_hi_u32 v5, v1, v5
	v_add_u32_e32 v1, v1, v5
	v_mul_hi_u32 v1, v6, v1
	v_mul_lo_u32 v5, v1, s18
	v_sub_u32_e32 v5, v6, v5
	v_add_u32_e32 v8, 1, v1
	v_subrev_u32_e32 v9, s18, v5
	v_cmp_le_u32_e32 vcc, s18, v5
	s_nop 1
	v_cndmask_b32_e32 v5, v5, v9, vcc
	v_cndmask_b32_e32 v1, v1, v8, vcc
	v_add_u32_e32 v8, 1, v1
	v_cmp_le_u32_e32 vcc, s18, v5
	v_mov_b32_e32 v9, v4
	s_nop 0
	v_cndmask_b32_e32 v8, v1, v8, vcc
.LBB0_6:                                ;   in Loop: Header=BB0_2 Depth=1
	s_or_b64 exec, exec, s[2:3]
	v_mad_u64_u32 v[10:11], s[2:3], v8, s18, 0
	s_load_dwordx2 s[2:3], s[12:13], 0x0
	v_mul_lo_u32 v1, v9, s18
	v_mul_lo_u32 v5, v8, s19
	v_add3_u32 v1, v11, v5, v1
	v_sub_co_u32_e32 v5, vcc, v6, v10
	s_add_u32 s14, s14, 1
	s_nop 0
	v_subb_co_u32_e32 v1, vcc, v7, v1, vcc
	s_addc_u32 s15, s15, 0
	s_waitcnt lgkmcnt(0)
	v_mul_lo_u32 v1, s2, v1
	v_mul_lo_u32 v6, s3, v5
	v_mad_u64_u32 v[2:3], s[2:3], s2, v5, v[2:3]
	s_add_u32 s12, s12, 8
	v_add3_u32 v3, v6, v3, v1
	s_addc_u32 s13, s13, 0
	v_mov_b64_e32 v[6:7], s[6:7]
	s_add_u32 s16, s16, 8
	v_cmp_ge_u64_e32 vcc, s[14:15], v[6:7]
	s_addc_u32 s17, s17, 0
	s_cbranch_vccnz .LBB0_9
; %bb.7:                                ;   in Loop: Header=BB0_2 Depth=1
	v_mov_b64_e32 v[6:7], v[8:9]
	s_branch .LBB0_2
.LBB0_8:
	v_mov_b64_e32 v[8:9], v[6:7]
.LBB0_9:
	s_lshl_b64 s[2:3], s[6:7], 3
	s_add_u32 s2, s10, s2
	s_addc_u32 s3, s11, s3
	s_load_dwordx2 s[6:7], s[2:3], 0x0
	s_load_dwordx2 s[10:11], s[0:1], 0x20
	s_mov_b32 s2, 0x1a41a42
	v_mov_b32_e32 v20, 0
                                        ; implicit-def: $vgpr46
                                        ; implicit-def: $vgpr38
                                        ; implicit-def: $vgpr40
                                        ; implicit-def: $vgpr42
                                        ; implicit-def: $vgpr44
                                        ; implicit-def: $vgpr14
                                        ; implicit-def: $vgpr30
                                        ; implicit-def: $vgpr32
                                        ; implicit-def: $vgpr34
                                        ; implicit-def: $vgpr36
                                        ; implicit-def: $vgpr26
                                        ; implicit-def: $vgpr28
	s_waitcnt lgkmcnt(0)
	v_mul_lo_u32 v1, s6, v9
	v_mul_lo_u32 v4, s7, v8
	v_mad_u64_u32 v[16:17], s[0:1], s6, v8, v[2:3]
	v_add3_u32 v17, v4, v17, v1
	v_mul_hi_u32 v1, v0, s2
	v_mul_u32_u24_e32 v1, 0x9c, v1
	v_sub_u32_e32 v18, v0, v1
	v_mov_b32_e32 v0, 0
	v_cmp_gt_u64_e64 s[0:1], s[10:11], v[8:9]
	v_mov_b32_e32 v1, v0
	s_and_saveexec_b64 s[2:3], s[0:1]
	s_cbranch_execz .LBB0_13
; %bb.10:
	s_movk_i32 s6, 0x84
	v_cmp_gt_u32_e32 vcc, s6, v18
	v_mov_b32_e32 v1, 0
	v_mov_b32_e32 v0, 0
                                        ; implicit-def: $vgpr29
                                        ; implicit-def: $vgpr27
                                        ; implicit-def: $vgpr37
                                        ; implicit-def: $vgpr35
                                        ; implicit-def: $vgpr33
                                        ; implicit-def: $vgpr31
                                        ; implicit-def: $vgpr15
                                        ; implicit-def: $vgpr45
                                        ; implicit-def: $vgpr43
                                        ; implicit-def: $vgpr41
                                        ; implicit-def: $vgpr39
                                        ; implicit-def: $vgpr47
	s_and_saveexec_b64 s[6:7], vcc
	s_cbranch_execz .LBB0_12
; %bb.11:
	v_mov_b32_e32 v19, 0
	v_lshl_add_u64 v[0:1], v[16:17], 3, s[8:9]
	v_lshl_add_u64 v[2:3], v[18:19], 3, v[0:1]
	v_add_co_u32_e32 v4, vcc, 0x1000, v2
	global_load_dwordx2 v[0:1], v[2:3], off
	global_load_dwordx2 v[28:29], v[2:3], off offset:1056
	global_load_dwordx2 v[26:27], v[2:3], off offset:2112
	;; [unrolled: 1-line block ×3, first 2 shown]
	v_addc_co_u32_e32 v5, vcc, 0, v3, vcc
	global_load_dwordx2 v[30:31], v[4:5], off offset:128
	global_load_dwordx2 v[32:33], v[4:5], off offset:1184
	;; [unrolled: 1-line block ×4, first 2 shown]
	v_add_co_u32_e32 v4, vcc, 0x2000, v2
	s_nop 1
	v_addc_co_u32_e32 v5, vcc, 0, v3, vcc
	global_load_dwordx2 v[44:45], v[4:5], off offset:256
	global_load_dwordx2 v[42:43], v[4:5], off offset:1312
	;; [unrolled: 1-line block ×4, first 2 shown]
	v_add_co_u32_e32 v2, vcc, 0x3000, v2
	s_nop 1
	v_addc_co_u32_e32 v3, vcc, 0, v3, vcc
	global_load_dwordx2 v[46:47], v[2:3], off offset:384
.LBB0_12:
	s_or_b64 exec, exec, s[6:7]
	v_mov_b32_e32 v20, v18
.LBB0_13:
	s_or_b64 exec, exec, s[2:3]
	s_waitcnt vmcnt(0)
	v_pk_add_f32 v[48:49], v[28:29], v[46:47]
	v_pk_add_f32 v[4:5], v[28:29], v[46:47] neg_lo:[0,1] neg_hi:[0,1]
	v_pk_add_f32 v[2:3], v[28:29], v[46:47]
	v_mov_b32_e32 v49, v4
	v_mov_b32_e32 v2, v5
	v_pk_add_f32 v[50:51], v[26:27], v[38:39]
	v_pk_add_f32 v[6:7], v[26:27], v[38:39] neg_lo:[0,1] neg_hi:[0,1]
	v_pk_add_f32 v[4:5], v[26:27], v[38:39]
	v_mov_b32_e32 v51, v6
	v_mov_b32_e32 v4, v7
	v_pk_add_f32 v[52:53], v[14:15], v[40:41]
	v_pk_add_f32 v[8:9], v[14:15], v[40:41] neg_lo:[0,1] neg_hi:[0,1]
	v_pk_add_f32 v[6:7], v[14:15], v[40:41]
	s_mov_b32 s2, 0xbf52af12
	v_mov_b32_e32 v53, v8
	v_mov_b32_e32 v6, v9
	v_pk_add_f32 v[54:55], v[30:31], v[42:43]
	v_pk_add_f32 v[10:11], v[30:31], v[42:43] neg_lo:[0,1] neg_hi:[0,1]
	v_pk_add_f32 v[8:9], v[30:31], v[42:43]
	s_mov_b32 s3, 0x3f116cb1
	s_mov_b32 s6, 0xbf6f5d39
	v_mov_b32_e32 v55, v10
	v_mov_b32_e32 v8, v11
	v_pk_add_f32 v[56:57], v[32:33], v[44:45]
	v_pk_add_f32 v[12:13], v[32:33], v[44:45] neg_lo:[0,1] neg_hi:[0,1]
	v_pk_add_f32 v[10:11], v[32:33], v[44:45]
	s_mov_b32 s34, s3
	s_mov_b32 s35, s2
	;; [unrolled: 1-line block ×3, first 2 shown]
	v_mov_b32_e32 v57, v12
	v_mov_b32_e32 v10, v13
	v_pk_add_f32 v[58:59], v[34:35], v[36:37]
	v_pk_add_f32 v[22:23], v[34:35], v[36:37] neg_lo:[0,1] neg_hi:[0,1]
	v_pk_add_f32 v[12:13], v[34:35], v[36:37]
	v_pk_mul_f32 v[62:63], v[48:49], s[34:35]
	s_mov_b32 s24, s7
	s_mov_b32 s25, s6
	;; [unrolled: 1-line block ×3, first 2 shown]
	v_mov_b32_e32 v59, v22
	v_mov_b32_e32 v12, v23
	v_pk_fma_f32 v[60:61], v[2:3], s[2:3], v[62:63]
	v_pk_fma_f32 v[22:23], v[2:3], s[2:3], v[62:63] neg_lo:[0,0,1] neg_hi:[0,0,1]
	v_pk_mul_f32 v[66:67], v[50:51], s[24:25]
	s_mov_b32 s11, 0xbf788fa5
	v_mov_b32_e32 v22, v60
	v_pk_fma_f32 v[64:65], v[4:5], s[6:7], v[66:67]
	v_pk_fma_f32 v[24:25], v[4:5], s[6:7], v[66:67] neg_lo:[0,0,1] neg_hi:[0,0,1]
	s_mov_b32 s28, s11
	s_mov_b32 s29, s10
	;; [unrolled: 1-line block ×3, first 2 shown]
	v_pk_add_f32 v[22:23], v[0:1], v[22:23]
	v_mov_b32_e32 v24, v64
	v_pk_mul_f32 v[70:71], v[52:53], s[28:29]
	s_mov_b32 s15, 0xbf3f9e67
	v_pk_add_f32 v[22:23], v[22:23], v[24:25]
	v_pk_fma_f32 v[68:69], v[6:7], s[10:11], v[70:71]
	v_pk_fma_f32 v[24:25], v[6:7], s[10:11], v[70:71] neg_lo:[0,0,1] neg_hi:[0,0,1]
	s_mov_b32 s40, s15
	s_mov_b32 s41, s14
	;; [unrolled: 1-line block ×3, first 2 shown]
	v_mov_b32_e32 v24, v68
	v_pk_mul_f32 v[74:75], v[54:55], s[40:41]
	s_mov_b32 s23, 0x3df6dbef
	v_pk_add_f32 v[22:23], v[24:25], v[22:23]
	v_pk_fma_f32 v[72:73], v[8:9], s[14:15], v[74:75]
	v_pk_fma_f32 v[24:25], v[8:9], s[14:15], v[74:75] neg_lo:[0,0,1] neg_hi:[0,0,1]
	s_mov_b32 s26, s23
	s_mov_b32 s27, s22
	;; [unrolled: 1-line block ×3, first 2 shown]
	v_mov_b32_e32 v24, v72
	v_pk_mul_f32 v[78:79], v[56:57], s[26:27]
	s_mov_b32 s17, 0x3f62ad3f
	v_pk_add_f32 v[22:23], v[22:23], v[24:25]
	v_pk_fma_f32 v[76:77], v[10:11], s[22:23], v[78:79]
	v_pk_fma_f32 v[24:25], v[10:11], s[22:23], v[78:79] neg_lo:[0,0,1] neg_hi:[0,0,1]
	s_mov_b32 s36, s17
	s_mov_b32 s37, s16
	v_mov_b32_e32 v24, v76
	v_pk_mul_f32 v[82:83], v[58:59], s[36:37]
	s_mov_b32 s12, 0xbf7e222b
	v_pk_add_f32 v[22:23], v[22:23], v[24:25]
	v_pk_fma_f32 v[80:81], v[12:13], s[16:17], v[82:83]
	v_pk_fma_f32 v[24:25], v[12:13], s[16:17], v[82:83] neg_lo:[0,0,1] neg_hi:[0,0,1]
	s_mov_b32 s42, s23
	s_mov_b32 s43, s12
	v_mov_b32_e32 v24, v80
	s_mov_b32 s13, s23
	v_pk_mul_f32 v[86:87], v[48:49], s[42:43]
	v_pk_add_f32 v[22:23], v[22:23], v[24:25]
	v_pk_fma_f32 v[84:85], v[2:3], s[12:13], v[86:87]
	v_pk_fma_f32 v[24:25], v[2:3], s[12:13], v[86:87] neg_lo:[0,0,1] neg_hi:[0,0,1]
	v_pk_mul_f32 v[90:91], v[50:51], s[28:29]
	s_mov_b32 s44, 0x3f6f5d39
	v_mov_b32_e32 v24, v84
	v_pk_fma_f32 v[88:89], v[4:5], s[10:11], v[90:91]
	v_pk_fma_f32 v[92:93], v[4:5], s[10:11], v[90:91] neg_lo:[0,0,1] neg_hi:[0,0,1]
	s_mov_b32 s18, s7
	s_mov_b32 s19, s44
	v_pk_add_f32 v[24:25], v[0:1], v[24:25]
	v_mov_b32_e32 v92, v88
	s_mov_b32 s45, s7
	v_pk_mul_f32 v[94:95], v[52:53], s[18:19]
	v_pk_add_f32 v[24:25], v[24:25], v[92:93]
	v_pk_fma_f32 v[92:93], v[6:7], s[44:45], v[94:95]
	v_pk_fma_f32 v[96:97], v[6:7], s[44:45], v[94:95] neg_lo:[0,0,1] neg_hi:[0,0,1]
	v_pk_mul_f32 v[98:99], v[54:55], s[36:37]
	v_mov_b32_e32 v96, v92
	v_pk_add_f32 v[24:25], v[96:97], v[24:25]
	v_pk_fma_f32 v[96:97], v[8:9], s[16:17], v[98:99]
	v_pk_fma_f32 v[100:101], v[8:9], s[16:17], v[98:99] neg_lo:[0,0,1] neg_hi:[0,0,1]
	v_pk_mul_f32 v[102:103], v[56:57], s[34:35]
	v_mov_b32_e32 v100, v96
	s_mov_b32 s18, 0xbf29c268
	v_pk_add_f32 v[24:25], v[24:25], v[100:101]
	v_pk_fma_f32 v[100:101], v[10:11], s[2:3], v[102:103]
	v_pk_fma_f32 v[104:105], v[10:11], s[2:3], v[102:103] neg_lo:[0,0,1] neg_hi:[0,0,1]
	s_mov_b32 s38, s15
	s_mov_b32 s39, s18
	v_mov_b32_e32 v104, v100
	s_mov_b32 s19, s15
	v_pk_mul_f32 v[106:107], v[58:59], s[38:39]
	v_pk_add_f32 v[24:25], v[24:25], v[104:105]
	v_pk_fma_f32 v[104:105], v[12:13], s[18:19], v[106:107]
	v_pk_fma_f32 v[108:109], v[12:13], s[18:19], v[106:107] neg_lo:[0,0,1] neg_hi:[0,0,1]
	s_movk_i32 s20, 0x84
	v_mov_b32_e32 v108, v104
	v_pk_add_f32 v[24:25], v[24:25], v[108:109]
	v_cmp_gt_u32_e32 vcc, s20, v18
	s_and_saveexec_b64 s[20:21], vcc
	s_cbranch_execz .LBB0_15
; %bb.14:
	v_pk_add_f32 v[28:29], v[0:1], v[28:29]
	s_mov_b32 s31, 0xbeedf032
	v_pk_add_f32 v[26:27], v[28:29], v[26:27]
	s_mov_b32 s30, s17
	v_pk_add_f32 v[14:15], v[26:27], v[14:15]
	v_pk_mul_f32 v[108:109], v[2:3], s[2:3]
	v_pk_add_f32 v[14:15], v[14:15], v[30:31]
	v_pk_mul_f32 v[30:31], v[50:51], s[34:35]
	v_pk_add_f32 v[14:15], v[14:15], v[32:33]
	v_pk_mul_f32 v[110:111], v[4:5], s[6:7]
	v_pk_add_f32 v[14:15], v[14:15], v[34:35]
	v_pk_fma_f32 v[34:35], v[4:5], s[2:3], v[30:31] neg_lo:[1,0,0] neg_hi:[1,0,0]
	v_pk_add_f32 v[14:15], v[14:15], v[36:37]
	v_pk_add_f32 v[62:63], v[62:63], v[108:109] neg_lo:[0,1] neg_hi:[0,1]
	v_pk_add_f32 v[14:15], v[44:45], v[14:15]
	v_pk_mul_f32 v[112:113], v[6:7], s[10:11]
	v_pk_add_f32 v[14:15], v[42:43], v[14:15]
	v_mov_b32_e32 v63, v61
	v_pk_add_f32 v[14:15], v[40:41], v[14:15]
	v_pk_add_f32 v[66:67], v[66:67], v[110:111] neg_lo:[0,1] neg_hi:[0,1]
	v_pk_add_f32 v[14:15], v[38:39], v[14:15]
	v_pk_add_f32 v[62:63], v[0:1], v[62:63]
	;; [unrolled: 1-line block ×3, first 2 shown]
	v_pk_mul_f32 v[14:15], v[48:49], s[30:31]
	s_mov_b32 s30, s31
	s_mov_b32 s31, s17
	v_pk_fma_f32 v[28:29], v[2:3], s[30:31], v[14:15] neg_lo:[1,0,0] neg_hi:[1,0,0]
	v_pk_fma_f32 v[26:27], v[2:3], s[30:31], v[14:15]
	v_mov_b32_e32 v67, v65
	v_mov_b32_e32 v29, v27
	v_pk_add_f32 v[32:33], v[0:1], v[28:29]
	v_pk_fma_f32 v[28:29], v[4:5], s[2:3], v[30:31]
	v_pk_add_f32 v[64:65], v[70:71], v[112:113] neg_lo:[0,1] neg_hi:[0,1]
	v_mov_b32_e32 v35, v29
	v_pk_add_f32 v[36:37], v[32:33], v[34:35]
	v_pk_mul_f32 v[34:35], v[52:53], s[42:43]
	v_pk_mul_f32 v[114:115], v[8:9], s[14:15]
	v_pk_fma_f32 v[38:39], v[6:7], s[12:13], v[34:35] neg_lo:[1,0,0] neg_hi:[1,0,0]
	v_pk_fma_f32 v[32:33], v[6:7], s[12:13], v[34:35]
	v_pk_add_f32 v[62:63], v[62:63], v[66:67]
	v_mov_b32_e32 v39, v33
	v_pk_add_f32 v[40:41], v[38:39], v[36:37]
	v_pk_mul_f32 v[38:39], v[54:55], s[24:25]
	v_mov_b32_e32 v65, v69
	v_pk_fma_f32 v[42:43], v[8:9], s[6:7], v[38:39] neg_lo:[1,0,0] neg_hi:[1,0,0]
	v_pk_fma_f32 v[36:37], v[8:9], s[6:7], v[38:39]
	v_pk_add_f32 v[62:63], v[64:65], v[62:63]
	v_mov_b32_e32 v43, v37
	v_pk_add_f32 v[44:45], v[40:41], v[42:43]
	v_pk_mul_f32 v[42:43], v[56:57], s[38:39]
	v_pk_add_f32 v[64:65], v[74:75], v[114:115] neg_lo:[0,1] neg_hi:[0,1]
	v_pk_fma_f32 v[46:47], v[10:11], s[18:19], v[42:43] neg_lo:[1,0,0] neg_hi:[1,0,0]
	v_pk_fma_f32 v[40:41], v[10:11], s[18:19], v[42:43]
	v_pk_mul_f32 v[116:117], v[10:11], s[22:23]
	v_mov_b32_e32 v47, v41
	v_mov_b32_e32 v65, v73
	v_pk_add_f32 v[124:125], v[44:45], v[46:47]
	v_pk_mul_f32 v[46:47], v[58:59], s[28:29]
	v_pk_add_f32 v[62:63], v[62:63], v[64:65]
	v_pk_add_f32 v[64:65], v[78:79], v[116:117] neg_lo:[0,1] neg_hi:[0,1]
	v_pk_mul_f32 v[118:119], v[12:13], s[16:17]
	v_pk_fma_f32 v[126:127], v[12:13], s[10:11], v[46:47] neg_lo:[1,0,0] neg_hi:[1,0,0]
	v_pk_fma_f32 v[44:45], v[12:13], s[10:11], v[46:47]
	v_mov_b32_e32 v65, v77
	s_movk_i32 s33, 0x68
	v_mov_b32_e32 v127, v45
	v_pk_add_f32 v[62:63], v[62:63], v[64:65]
	v_pk_add_f32 v[64:65], v[82:83], v[118:119] neg_lo:[0,1] neg_hi:[0,1]
	v_pk_mul_f32 v[120:121], v[2:3], s[12:13]
	v_pk_add_f32 v[124:125], v[124:125], v[126:127]
	v_mad_u32_u24 v19, v18, s33, 0
	v_mov_b32_e32 v65, v81
	ds_write2_b64 v19, v[122:123], v[124:125] offset1:1
	v_pk_mul_f32 v[122:123], v[4:5], s[10:11]
	v_pk_add_f32 v[62:63], v[62:63], v[64:65]
	v_pk_add_f32 v[64:65], v[86:87], v[120:121] neg_lo:[0,1] neg_hi:[0,1]
	v_pk_add_f32 v[66:67], v[90:91], v[122:123] neg_lo:[0,1] neg_hi:[0,1]
	v_mov_b32_e32 v65, v85
	v_pk_mul_f32 v[124:125], v[6:7], s[44:45]
	v_pk_add_f32 v[64:65], v[0:1], v[64:65]
	v_mov_b32_e32 v67, v89
	v_pk_add_f32 v[64:65], v[64:65], v[66:67]
	v_pk_add_f32 v[66:67], v[94:95], v[124:125] neg_lo:[0,1] neg_hi:[0,1]
	v_pk_mul_f32 v[108:109], v[8:9], s[16:17]
	v_mov_b32_e32 v67, v93
	v_pk_mul_f32 v[60:61], v[10:11], s[2:3]
	v_pk_add_f32 v[64:65], v[66:67], v[64:65]
	v_pk_add_f32 v[66:67], v[98:99], v[108:109] neg_lo:[0,1] neg_hi:[0,1]
	v_pk_add_f32 v[60:61], v[102:103], v[60:61] neg_lo:[0,1] neg_hi:[0,1]
	v_mov_b32_e32 v67, v97
	v_pk_mul_f32 v[110:111], v[12:13], s[18:19]
	v_pk_add_f32 v[64:65], v[64:65], v[66:67]
	v_mov_b32_e32 v61, v101
	v_pk_add_f32 v[60:61], v[64:65], v[60:61]
	v_pk_add_f32 v[64:65], v[106:107], v[110:111] neg_lo:[0,1] neg_hi:[0,1]
	v_pk_mul_f32 v[66:67], v[50:51], s[40:41]
	v_mov_b32_e32 v65, v105
	v_pk_add_f32 v[60:61], v[60:61], v[64:65]
	ds_write2_b64 v19, v[62:63], v[60:61] offset0:2 offset1:3
	v_pk_mul_f32 v[60:61], v[48:49], s[24:25]
	v_pk_fma_f32 v[68:69], v[4:5], s[14:15], v[66:67] neg_lo:[1,0,0] neg_hi:[1,0,0]
	v_pk_fma_f32 v[62:63], v[2:3], s[6:7], v[60:61] neg_lo:[1,0,0] neg_hi:[1,0,0]
	v_pk_fma_f32 v[64:65], v[2:3], s[6:7], v[60:61]
	v_pk_fma_f32 v[70:71], v[4:5], s[14:15], v[66:67]
	v_mov_b32_e32 v63, v65
	v_pk_add_f32 v[62:63], v[0:1], v[62:63]
	v_mov_b32_e32 v69, v71
	v_pk_add_f32 v[62:63], v[62:63], v[68:69]
	v_pk_mul_f32 v[68:69], v[52:53], s[36:37]
	s_mov_b32 s45, 0x3e750f2a
	v_pk_fma_f32 v[72:73], v[6:7], s[16:17], v[68:69] neg_lo:[1,0,0] neg_hi:[1,0,0]
	v_pk_fma_f32 v[74:75], v[6:7], s[16:17], v[68:69]
	s_mov_b32 s44, s11
	v_mov_b32_e32 v73, v75
	v_pk_add_f32 v[62:63], v[72:73], v[62:63]
	v_pk_mul_f32 v[72:73], v[54:55], s[42:43]
	s_mov_b32 s40, s45
	v_pk_fma_f32 v[76:77], v[8:9], s[12:13], v[72:73] neg_lo:[1,0,0] neg_hi:[1,0,0]
	v_pk_fma_f32 v[78:79], v[8:9], s[12:13], v[72:73]
	s_mov_b32 s41, s11
	;; [unrolled: 7-line block ×3, first 2 shown]
	v_mov_b32_e32 v81, v83
	v_pk_add_f32 v[62:63], v[62:63], v[80:81]
	v_pk_mul_f32 v[80:81], v[58:59], s[46:47]
	s_mov_b32 s42, s47
	s_mov_b32 s43, s3
	v_pk_fma_f32 v[84:85], v[12:13], s[42:43], v[80:81] neg_lo:[1,0,0] neg_hi:[1,0,0]
	v_pk_fma_f32 v[86:87], v[12:13], s[42:43], v[80:81]
	v_pk_mul_f32 v[92:93], v[50:51], s[26:27]
	v_mov_b32_e32 v85, v87
	v_pk_add_f32 v[62:63], v[62:63], v[84:85]
	v_pk_mul_f32 v[84:85], v[48:49], s[38:39]
	v_pk_fma_f32 v[94:95], v[4:5], s[22:23], v[92:93] neg_lo:[1,0,0] neg_hi:[1,0,0]
	v_pk_fma_f32 v[88:89], v[2:3], s[18:19], v[84:85] neg_lo:[1,0,0] neg_hi:[1,0,0]
	v_pk_fma_f32 v[90:91], v[2:3], s[18:19], v[84:85]
	v_pk_fma_f32 v[96:97], v[4:5], s[22:23], v[92:93]
	v_mov_b32_e32 v89, v91
	v_pk_add_f32 v[88:89], v[0:1], v[88:89]
	v_mov_b32_e32 v95, v97
	v_pk_add_f32 v[88:89], v[88:89], v[94:95]
	v_pk_mul_f32 v[94:95], v[52:53], s[34:35]
	v_pk_mul_f32 v[48:49], v[48:49], s[28:29]
	v_pk_fma_f32 v[98:99], v[6:7], s[2:3], v[94:95] neg_lo:[1,0,0] neg_hi:[1,0,0]
	v_pk_fma_f32 v[100:101], v[6:7], s[2:3], v[94:95]
	v_pk_mul_f32 v[50:51], v[50:51], s[36:37]
	v_mov_b32_e32 v99, v101
	v_pk_add_f32 v[88:89], v[98:99], v[88:89]
	v_pk_mul_f32 v[98:99], v[54:55], s[44:45]
	v_pk_fma_f32 v[114:115], v[4:5], s[16:17], v[50:51]
	v_pk_fma_f32 v[102:103], v[8:9], s[40:41], v[98:99] neg_lo:[1,0,0] neg_hi:[1,0,0]
	v_pk_fma_f32 v[104:105], v[8:9], s[40:41], v[98:99]
	v_pk_mul_f32 v[52:53], v[52:53], s[38:39]
	v_mov_b32_e32 v103, v105
	v_pk_add_f32 v[88:89], v[88:89], v[102:103]
	v_pk_mul_f32 v[102:103], v[56:57], s[36:37]
	v_pk_fma_f32 v[116:117], v[6:7], s[18:19], v[52:53]
	;; [unrolled: 7-line block ×3, first 2 shown]
	v_pk_fma_f32 v[110:111], v[12:13], s[6:7], v[106:107] neg_lo:[1,0,0] neg_hi:[1,0,0]
	v_pk_fma_f32 v[112:113], v[12:13], s[6:7], v[106:107]
	v_pk_mul_f32 v[56:57], v[56:57], s[24:25]
	v_mov_b32_e32 v111, v113
	v_pk_add_f32 v[88:89], v[88:89], v[110:111]
	ds_write2_b64 v19, v[62:63], v[88:89] offset0:4 offset1:5
	v_pk_fma_f32 v[62:63], v[2:3], s[10:11], v[48:49] neg_lo:[1,0,0] neg_hi:[1,0,0]
	v_pk_fma_f32 v[88:89], v[2:3], s[10:11], v[48:49]
	v_pk_fma_f32 v[110:111], v[4:5], s[16:17], v[50:51] neg_lo:[1,0,0] neg_hi:[1,0,0]
	v_mov_b32_e32 v63, v89
	v_pk_add_f32 v[62:63], v[0:1], v[62:63]
	v_mov_b32_e32 v111, v115
	v_pk_add_f32 v[62:63], v[62:63], v[110:111]
	v_pk_fma_f32 v[110:111], v[6:7], s[18:19], v[52:53] neg_lo:[1,0,0] neg_hi:[1,0,0]
	v_pk_fma_f32 v[50:51], v[4:5], s[16:17], v[50:51] neg_lo:[0,0,1] neg_hi:[0,0,1]
	v_mov_b32_e32 v111, v117
	v_pk_add_f32 v[62:63], v[110:111], v[62:63]
	v_pk_fma_f32 v[110:111], v[8:9], s[42:43], v[54:55] neg_lo:[1,0,0] neg_hi:[1,0,0]
	v_mov_b32_e32 v115, v51
	v_mov_b32_e32 v111, v119
	v_pk_fma_f32 v[50:51], v[6:7], s[18:19], v[52:53] neg_lo:[0,0,1] neg_hi:[0,0,1]
	v_pk_add_f32 v[62:63], v[62:63], v[110:111]
	v_pk_fma_f32 v[110:111], v[10:11], s[6:7], v[56:57] neg_lo:[1,0,0] neg_hi:[1,0,0]
	v_pk_fma_f32 v[120:121], v[10:11], s[6:7], v[56:57]
	v_pk_fma_f32 v[48:49], v[2:3], s[10:11], v[48:49] neg_lo:[0,0,1] neg_hi:[0,0,1]
	v_mov_b32_e32 v117, v51
	v_pk_fma_f32 v[50:51], v[8:9], s[42:43], v[54:55] neg_lo:[0,0,1] neg_hi:[0,0,1]
	v_mov_b32_e32 v111, v121
	v_pk_mul_f32 v[58:59], v[58:59], s[26:27]
	v_mov_b32_e32 v89, v49
	v_mov_b32_e32 v119, v51
	v_pk_fma_f32 v[50:51], v[10:11], s[6:7], v[56:57] neg_lo:[0,0,1] neg_hi:[0,0,1]
	v_pk_add_f32 v[62:63], v[62:63], v[110:111]
	v_pk_fma_f32 v[110:111], v[12:13], s[22:23], v[58:59] neg_lo:[1,0,0] neg_hi:[1,0,0]
	v_pk_fma_f32 v[122:123], v[12:13], s[22:23], v[58:59]
	v_pk_add_f32 v[48:49], v[0:1], v[88:89]
	v_mov_b32_e32 v121, v51
	v_pk_fma_f32 v[50:51], v[12:13], s[22:23], v[58:59] neg_lo:[0,0,1] neg_hi:[0,0,1]
	v_mov_b32_e32 v111, v123
	v_pk_add_f32 v[48:49], v[48:49], v[114:115]
	v_mov_b32_e32 v123, v51
	v_pk_fma_f32 v[50:51], v[4:5], s[22:23], v[92:93] neg_lo:[0,0,1] neg_hi:[0,0,1]
	v_pk_add_f32 v[48:49], v[116:117], v[48:49]
	v_mov_b32_e32 v97, v51
	v_pk_fma_f32 v[50:51], v[6:7], s[2:3], v[94:95] neg_lo:[0,0,1] neg_hi:[0,0,1]
	;; [unrolled: 3-line block ×4, first 2 shown]
	v_pk_add_f32 v[62:63], v[62:63], v[110:111]
	v_pk_add_f32 v[48:49], v[48:49], v[122:123]
	v_mov_b32_e32 v109, v51
	v_pk_fma_f32 v[50:51], v[12:13], s[6:7], v[106:107] neg_lo:[0,0,1] neg_hi:[0,0,1]
	ds_write2_b64 v19, v[62:63], v[48:49] offset0:6 offset1:7
	v_pk_fma_f32 v[48:49], v[2:3], s[18:19], v[84:85] neg_lo:[0,0,1] neg_hi:[0,0,1]
	v_mov_b32_e32 v113, v51
	v_pk_fma_f32 v[50:51], v[2:3], s[6:7], v[60:61] neg_lo:[0,0,1] neg_hi:[0,0,1]
	v_pk_fma_f32 v[2:3], v[2:3], s[30:31], v[14:15] neg_lo:[0,0,1] neg_hi:[0,0,1]
	v_mov_b32_e32 v91, v49
	v_mov_b32_e32 v65, v51
	v_pk_fma_f32 v[52:53], v[4:5], s[14:15], v[66:67] neg_lo:[0,0,1] neg_hi:[0,0,1]
	v_mov_b32_e32 v27, v3
	v_pk_fma_f32 v[2:3], v[4:5], s[2:3], v[30:31] neg_lo:[0,0,1] neg_hi:[0,0,1]
	v_pk_add_f32 v[48:49], v[0:1], v[90:91]
	v_pk_add_f32 v[50:51], v[0:1], v[64:65]
	v_mov_b32_e32 v71, v53
	v_pk_fma_f32 v[52:53], v[6:7], s[16:17], v[68:69] neg_lo:[0,0,1] neg_hi:[0,0,1]
	v_pk_add_f32 v[0:1], v[0:1], v[26:27]
	v_mov_b32_e32 v29, v3
	v_pk_fma_f32 v[2:3], v[6:7], s[12:13], v[34:35] neg_lo:[0,0,1] neg_hi:[0,0,1]
	v_pk_add_f32 v[48:49], v[48:49], v[96:97]
	v_pk_add_f32 v[50:51], v[50:51], v[70:71]
	v_mov_b32_e32 v75, v53
	v_pk_fma_f32 v[52:53], v[8:9], s[12:13], v[72:73] neg_lo:[0,0,1] neg_hi:[0,0,1]
	v_pk_add_f32 v[0:1], v[0:1], v[28:29]
	;; [unrolled: 7-line block ×4, first 2 shown]
	v_mov_b32_e32 v41, v3
	v_pk_fma_f32 v[2:3], v[12:13], s[10:11], v[46:47] neg_lo:[0,0,1] neg_hi:[0,0,1]
	v_pk_add_f32 v[48:49], v[48:49], v[108:109]
	v_pk_add_f32 v[50:51], v[50:51], v[82:83]
	v_mov_b32_e32 v87, v53
	v_pk_add_f32 v[0:1], v[0:1], v[40:41]
	v_mov_b32_e32 v45, v3
	v_pk_add_f32 v[48:49], v[48:49], v[112:113]
	v_pk_add_f32 v[50:51], v[50:51], v[86:87]
	;; [unrolled: 1-line block ×3, first 2 shown]
	ds_write2_b64 v19, v[48:49], v[50:51] offset0:8 offset1:9
	ds_write2_b64 v19, v[24:25], v[22:23] offset0:10 offset1:11
	ds_write_b64 v19, v[0:1] offset:96
.LBB0_15:
	s_or_b64 exec, exec, s[20:21]
	v_lshl_add_u32 v19, v18, 3, 0
	v_add_u32_e32 v33, 0x138, v18
	v_add_u32_e32 v4, 0x1300, v19
	;; [unrolled: 1-line block ×4, first 2 shown]
	v_lshl_add_u32 v21, v33, 3, 0
	v_add_u32_e32 v12, 0x2800, v19
	s_waitcnt lgkmcnt(0)
	s_barrier
	ds_read2_b64 v[0:3], v19 offset1:156
	ds_read2_b64 v[4:7], v4 offset0:16 offset1:250
	ds_read2_b64 v[8:11], v8 offset0:54 offset1:210
	v_lshl_add_u32 v30, v32, 3, 0
	ds_read_b64 v[26:27], v21
	ds_read_b64 v[28:29], v30
	ds_read2_b64 v[12:15], v12 offset0:46 offset1:202
	s_movk_i32 s2, 0x4e
	v_cmp_gt_u32_e32 vcc, s2, v18
	s_and_saveexec_b64 s[2:3], vcc
	s_cbranch_execz .LBB0_17
; %bb.16:
	ds_read_b64 v[24:25], v19 offset:6240
	ds_read_b64 v[22:23], v19 offset:13104
.LBB0_17:
	s_or_b64 exec, exec, s[2:3]
	s_movk_i32 s2, 0x4f
	v_add_u32_e32 v31, 0x9c, v18
	v_mul_lo_u16_sdwa v36, v18, s2 dst_sel:DWORD dst_unused:UNUSED_PAD src0_sel:BYTE_0 src1_sel:DWORD
	s_movk_i32 s2, 0x4ec5
	v_mul_u32_u24_sdwa v37, v31, s2 dst_sel:DWORD dst_unused:UNUSED_PAD src0_sel:WORD_0 src1_sel:DWORD
	v_lshrrev_b32_e32 v48, 18, v37
	v_mul_lo_u16_e32 v37, 13, v48
	v_sub_u16_e32 v40, v31, v37
	v_mul_u32_u24_sdwa v37, v33, s2 dst_sel:DWORD dst_unused:UNUSED_PAD src0_sel:WORD_0 src1_sel:DWORD
	v_lshrrev_b32_e32 v49, 18, v37
	v_mul_lo_u16_e32 v37, 13, v49
	v_sub_u16_e32 v41, v33, v37
	v_mul_u32_u24_sdwa v33, v32, s2 dst_sel:DWORD dst_unused:UNUSED_PAD src0_sel:WORD_0 src1_sel:DWORD
	v_lshrrev_b32_e32 v50, 18, v33
	v_add_u32_e32 v34, 0x270, v18
	v_mul_lo_u16_e32 v33, 13, v50
	v_sub_u16_e32 v37, v32, v33
	v_mul_u32_u24_sdwa v32, v34, s2 dst_sel:DWORD dst_unused:UNUSED_PAD src0_sel:WORD_0 src1_sel:DWORD
	v_lshrrev_b32_e32 v51, 18, v32
	v_add_u32_e32 v35, 0x30c, v18
	v_mul_lo_u16_e32 v32, 13, v51
	v_lshrrev_b16_e32 v47, 10, v36
	v_sub_u16_e32 v42, v34, v32
	v_mul_u32_u24_sdwa v32, v35, s2 dst_sel:DWORD dst_unused:UNUSED_PAD src0_sel:WORD_0 src1_sel:DWORD
	v_mul_lo_u16_e32 v36, 13, v47
	v_lshrrev_b32_e32 v32, 18, v32
	v_sub_u16_e32 v36, v18, v36
	v_mul_lo_u16_e32 v33, 13, v32
	v_mov_b32_e32 v34, 3
	v_sub_u16_e32 v33, v35, v33
	v_lshlrev_b32_sdwa v53, v34, v36 dst_sel:DWORD dst_unused:UNUSED_PAD src0_sel:DWORD src1_sel:BYTE_0
	v_lshlrev_b32_e32 v33, 3, v33
	v_lshlrev_b32_e32 v52, 3, v37
	global_load_dwordx2 v[34:35], v53, s[4:5]
	global_load_dwordx2 v[36:37], v52, s[4:5]
	;; [unrolled: 1-line block ×3, first 2 shown]
	v_lshlrev_b32_e32 v56, 3, v42
	v_lshlrev_b32_e32 v54, 3, v40
	;; [unrolled: 1-line block ×3, first 2 shown]
	global_load_dwordx2 v[40:41], v56, s[4:5]
	global_load_dwordx2 v[42:43], v55, s[4:5]
	;; [unrolled: 1-line block ×3, first 2 shown]
	s_mov_b32 s3, 0x5040100
	s_movk_i32 s2, 0xd0
	v_perm_b32 v49, v50, v49, s3
	v_pk_mul_lo_u16 v49, v49, s2 op_sel_hi:[1,0]
	s_waitcnt lgkmcnt(0)
	v_mov_b32_e32 v46, v23
	v_mul_u32_u24_e32 v47, 0xd0, v47
	v_mul_u32_u24_e32 v48, 0xd0, v48
	;; [unrolled: 1-line block ×3, first 2 shown]
	v_and_b32_e32 v51, 0xfff0, v49
	v_lshrrev_b32_e32 v49, 16, v49
	v_add3_u32 v60, 0, v47, v53
	v_add3_u32 v61, 0, v48, v54
	;; [unrolled: 1-line block ×5, first 2 shown]
	s_barrier
	s_waitcnt vmcnt(5)
	v_pk_mul_f32 v[56:57], v[34:35], v[6:7] op_sel:[0,1]
	s_waitcnt vmcnt(4)
	v_pk_mul_f32 v[48:49], v[36:37], v[12:13] op_sel:[0,1]
	s_waitcnt vmcnt(3)
	v_pk_mul_f32 v[46:47], v[46:47], v[38:39] op_sel_hi:[0,1]
	v_pk_fma_f32 v[58:59], v[36:37], v[12:13], v[48:49] op_sel:[0,0,1] op_sel_hi:[1,1,0] neg_lo:[0,0,1] neg_hi:[0,0,1]
	s_waitcnt vmcnt(2)
	v_pk_mul_f32 v[50:51], v[40:41], v[14:15] op_sel:[0,1]
	s_waitcnt vmcnt(1)
	v_pk_mul_f32 v[52:53], v[42:43], v[10:11] op_sel:[0,1]
	;; [unrolled: 2-line block ×3, first 2 shown]
	v_pk_fma_f32 v[12:13], v[36:37], v[12:13], v[48:49] op_sel:[0,0,1] op_sel_hi:[1,0,0]
	v_pk_fma_f32 v[36:37], v[22:23], v[38:39], v[46:47] op_sel:[0,0,1] op_sel_hi:[1,1,0] neg_lo:[0,0,1] neg_hi:[0,0,1]
	v_pk_fma_f32 v[22:23], v[22:23], v[38:39], v[46:47] op_sel:[0,0,1] op_sel_hi:[0,1,0]
	v_pk_fma_f32 v[38:39], v[40:41], v[14:15], v[50:51] op_sel:[0,0,1] op_sel_hi:[1,1,0] neg_lo:[0,0,1] neg_hi:[0,0,1]
	;; [unrolled: 2-line block ×5, first 2 shown]
	v_pk_fma_f32 v[6:7], v[34:35], v[6:7], v[56:57] op_sel:[0,0,1] op_sel_hi:[1,0,0]
	v_mov_b32_e32 v37, v23
	v_mov_b32_e32 v41, v11
	;; [unrolled: 1-line block ×5, first 2 shown]
	v_pk_add_f32 v[12:13], v[24:25], v[36:37] neg_lo:[0,1] neg_hi:[0,1]
	v_pk_add_f32 v[22:23], v[26:27], v[40:41] neg_lo:[0,1] neg_hi:[0,1]
	v_mov_b32_e32 v43, v9
	v_pk_add_f32 v[8:9], v[28:29], v[58:59] neg_lo:[0,1] neg_hi:[0,1]
	v_pk_add_f32 v[10:11], v[4:5], v[38:39] neg_lo:[0,1] neg_hi:[0,1]
	v_pk_fma_f32 v[14:15], v[24:25], 2.0, v[12:13] op_sel_hi:[1,0,1] neg_lo:[0,0,1] neg_hi:[0,0,1]
	v_pk_fma_f32 v[24:25], v[26:27], 2.0, v[22:23] op_sel_hi:[1,0,1] neg_lo:[0,0,1] neg_hi:[0,0,1]
	v_pk_add_f32 v[26:27], v[0:1], v[44:45] neg_lo:[0,1] neg_hi:[0,1]
	v_pk_add_f32 v[34:35], v[2:3], v[42:43] neg_lo:[0,1] neg_hi:[0,1]
	v_pk_fma_f32 v[6:7], v[28:29], 2.0, v[8:9] op_sel_hi:[1,0,1] neg_lo:[0,0,1] neg_hi:[0,0,1]
	v_pk_fma_f32 v[4:5], v[4:5], 2.0, v[10:11] op_sel_hi:[1,0,1] neg_lo:[0,0,1] neg_hi:[0,0,1]
	;; [unrolled: 1-line block ×4, first 2 shown]
	ds_write2_b64 v60, v[0:1], v[26:27] offset1:13
	ds_write2_b64 v61, v[2:3], v[34:35] offset1:13
	;; [unrolled: 1-line block ×5, first 2 shown]
	s_and_saveexec_b64 s[2:3], vcc
	s_cbranch_execz .LBB0_19
; %bb.18:
	v_mul_lo_u16_e32 v0, 26, v32
	v_lshlrev_b32_e32 v0, 3, v0
	v_add3_u32 v0, 0, v33, v0
	ds_write2_b64 v0, v[14:15], v[12:13] offset1:13
.LBB0_19:
	s_or_b64 exec, exec, s[2:3]
	s_waitcnt lgkmcnt(0)
	s_barrier
	ds_read_b64 v[0:1], v19
	ds_read_b64 v[28:29], v19 offset:2288
	ds_read_b64 v[26:27], v19 offset:4576
	;; [unrolled: 1-line block ×5, first 2 shown]
	s_movk_i32 s2, 0x82
	v_cmp_gt_u32_e32 vcc, s2, v18
	s_and_saveexec_b64 s[2:3], vcc
	s_cbranch_execz .LBB0_21
; %bb.20:
	ds_read_b64 v[6:7], v19 offset:1248
	ds_read_b64 v[8:9], v19 offset:3536
	ds_read_b64 v[4:5], v19 offset:5824
	ds_read_b64 v[10:11], v19 offset:8112
	ds_read_b64 v[14:15], v19 offset:10400
	ds_read_b64 v[12:13], v19 offset:12688
.LBB0_21:
	s_or_b64 exec, exec, s[2:3]
	s_movk_i32 s2, 0x4f
	v_mul_lo_u16_sdwa v32, v18, s2 dst_sel:DWORD dst_unused:UNUSED_PAD src0_sel:BYTE_0 src1_sel:DWORD
	v_lshrrev_b16_e32 v42, 11, v32
	v_mul_lo_u16_e32 v32, 26, v42
	v_sub_u16_e32 v43, v18, v32
	v_mov_b32_e32 v32, 5
	v_mul_u32_u24_sdwa v32, v43, v32 dst_sel:DWORD dst_unused:UNUSED_PAD src0_sel:BYTE_0 src1_sel:DWORD
	v_lshlrev_b32_e32 v44, 3, v32
	global_load_dwordx4 v[32:35], v44, s[4:5] offset:104
	global_load_dwordx4 v[36:39], v44, s[4:5] offset:120
	global_load_dwordx2 v[40:41], v44, s[4:5] offset:136
	v_mov_b32_e32 v44, 3
	v_mul_u32_u24_e32 v42, 0x4e0, v42
	v_lshlrev_b32_sdwa v43, v44, v43 dst_sel:DWORD dst_unused:UNUSED_PAD src0_sel:DWORD src1_sel:BYTE_0
	v_add3_u32 v54, 0, v42, v43
	s_mov_b32 s2, 0x3f5db3d7
	s_mov_b32 s3, 0xbf5db3d7
	s_waitcnt lgkmcnt(0)
	s_barrier
	s_waitcnt vmcnt(2)
	v_pk_mul_f32 v[42:43], v[32:33], v[28:29] op_sel:[0,1]
	v_pk_mul_f32 v[44:45], v[34:35], v[26:27] op_sel:[0,1]
	s_waitcnt vmcnt(1)
	v_pk_mul_f32 v[46:47], v[36:37], v[24:25] op_sel:[0,1]
	v_pk_mul_f32 v[48:49], v[38:39], v[22:23] op_sel:[0,1]
	s_waitcnt vmcnt(0)
	v_pk_mul_f32 v[50:51], v[40:41], v[2:3] op_sel:[0,1]
	v_pk_fma_f32 v[52:53], v[32:33], v[28:29], v[42:43] op_sel:[0,0,1] op_sel_hi:[1,1,0] neg_lo:[0,0,1] neg_hi:[0,0,1]
	v_pk_fma_f32 v[28:29], v[32:33], v[28:29], v[42:43] op_sel:[0,0,1] op_sel_hi:[1,0,0]
	v_pk_fma_f32 v[32:33], v[34:35], v[26:27], v[44:45] op_sel:[0,0,1] op_sel_hi:[1,1,0] neg_lo:[0,0,1] neg_hi:[0,0,1]
	v_pk_fma_f32 v[26:27], v[34:35], v[26:27], v[44:45] op_sel:[0,0,1] op_sel_hi:[1,0,0]
	;; [unrolled: 2-line block ×5, first 2 shown]
	v_mov_b32_e32 v33, v27
	v_mov_b32_e32 v35, v25
	;; [unrolled: 1-line block ×5, first 2 shown]
	v_pk_add_f32 v[24:25], v[32:33], v[36:37]
	v_pk_add_f32 v[26:27], v[32:33], v[36:37] neg_lo:[0,1] neg_hi:[0,1]
	v_pk_add_f32 v[28:29], v[34:35], v[38:39]
	v_pk_add_f32 v[2:3], v[0:1], v[32:33]
	;; [unrolled: 1-line block ×3, first 2 shown]
	v_pk_add_f32 v[32:33], v[34:35], v[38:39] neg_lo:[0,1] neg_hi:[0,1]
	v_pk_fma_f32 v[0:1], v[24:25], 0.5, v[0:1] op_sel_hi:[1,0,1] neg_lo:[1,0,0] neg_hi:[1,0,0]
	v_pk_mul_f32 v[24:25], v[26:27], s[2:3] op_sel_hi:[1,0]
	v_pk_fma_f32 v[26:27], v[28:29], 0.5, v[52:53] op_sel_hi:[1,0,1] neg_lo:[1,0,0] neg_hi:[1,0,0]
	v_pk_add_f32 v[2:3], v[2:3], v[36:37]
	v_pk_add_f32 v[22:23], v[22:23], v[38:39]
	v_pk_add_f32 v[34:35], v[24:25], v[0:1] op_sel:[1,0] op_sel_hi:[0,1]
	v_pk_add_f32 v[0:1], v[0:1], v[24:25] op_sel:[0,1] op_sel_hi:[1,0] neg_lo:[0,1] neg_hi:[0,1]
	v_pk_fma_f32 v[24:25], v[32:33], s[2:3], v[26:27] op_sel:[0,0,1] op_sel_hi:[1,0,0]
	v_pk_fma_f32 v[26:27], v[32:33], s[2:3], v[26:27] op_sel:[0,0,1] op_sel_hi:[1,0,0] neg_lo:[1,0,0] neg_hi:[1,0,0]
	v_pk_add_f32 v[28:29], v[2:3], v[22:23]
	v_pk_add_f32 v[2:3], v[2:3], v[22:23] neg_lo:[0,1] neg_hi:[0,1]
	v_mov_b32_e32 v22, v0
	v_mov_b32_e32 v32, v24
	v_mov_b32_e32 v33, v27
	v_mul_f32_e32 v0, 0x3f5db3d7, v26
	v_mov_b32_e32 v23, v35
	v_mul_f32_e32 v35, 0xbf5db3d7, v25
	v_fmac_f32_e32 v0, 0.5, v25
	v_pk_mul_f32 v[24:25], v[32:33], 0.5 op_sel_hi:[1,0]
	v_fmac_f32_e32 v35, 0.5, v26
	v_pk_fma_f32 v[24:25], v[32:33], s[2:3], v[24:25] op_sel:[0,0,1] op_sel_hi:[1,1,0] neg_lo:[0,0,1] neg_hi:[0,0,1]
	v_add_f32_e32 v26, v34, v0
	v_add_f32_e32 v27, v1, v35
	v_pk_add_f32 v[32:33], v[22:23], v[24:25]
	v_sub_f32_e32 v0, v34, v0
	v_sub_f32_e32 v1, v1, v35
	ds_write2_b64 v54, v[28:29], v[26:27] offset1:26
	v_pk_add_f32 v[22:23], v[22:23], v[24:25] neg_lo:[0,1] neg_hi:[0,1]
	ds_write2_b64 v54, v[32:33], v[2:3] offset0:52 offset1:78
	ds_write2_b64 v54, v[0:1], v[22:23] offset0:104 offset1:130
	s_and_saveexec_b64 s[6:7], vcc
	s_cbranch_execz .LBB0_23
; %bb.22:
	s_movk_i32 s10, 0x4ec5
	v_mul_u32_u24_sdwa v0, v31, s10 dst_sel:DWORD dst_unused:UNUSED_PAD src0_sel:WORD_0 src1_sel:DWORD
	v_lshrrev_b32_e32 v29, 19, v0
	v_mul_lo_u16_e32 v0, 26, v29
	v_sub_u16_e32 v31, v31, v0
	v_mul_u32_u24_e32 v0, 5, v31
	v_lshlrev_b32_e32 v28, 3, v0
	global_load_dwordx4 v[0:3], v28, s[4:5] offset:104
	global_load_dwordx4 v[22:25], v28, s[4:5] offset:120
	global_load_dwordx2 v[26:27], v28, s[4:5] offset:136
	v_mov_b32_e32 v28, v5
	v_mov_b32_e32 v32, v15
	v_mov_b32_e32 v36, v11
	v_mov_b32_e32 v38, v13
	v_mul_lo_u16_e32 v5, 0x9c, v29
	v_mov_b32_e32 v34, v9
	v_lshlrev_b32_e32 v5, 3, v5
	v_lshlrev_b32_e32 v9, 3, v31
	v_add3_u32 v31, 0, v9, v5
	s_waitcnt vmcnt(2)
	v_pk_mul_f32 v[28:29], v[28:29], v[2:3] op_sel_hi:[0,1]
	s_waitcnt vmcnt(1)
	v_pk_mul_f32 v[32:33], v[32:33], v[24:25] op_sel_hi:[0,1]
	v_pk_mul_f32 v[36:37], v[36:37], v[22:23] op_sel_hi:[0,1]
	s_waitcnt vmcnt(0)
	v_pk_mul_f32 v[38:39], v[38:39], v[26:27] op_sel_hi:[0,1]
	v_pk_mul_f32 v[34:35], v[34:35], v[0:1] op_sel_hi:[0,1]
	v_pk_fma_f32 v[40:41], v[4:5], v[2:3], v[28:29] op_sel:[0,0,1] op_sel_hi:[1,1,0] neg_lo:[0,0,1] neg_hi:[0,0,1]
	v_pk_fma_f32 v[2:3], v[4:5], v[2:3], v[28:29] op_sel:[0,0,1] op_sel_hi:[0,1,0]
	v_pk_fma_f32 v[4:5], v[14:15], v[24:25], v[32:33] op_sel:[0,0,1] op_sel_hi:[1,1,0] neg_lo:[0,0,1] neg_hi:[0,0,1]
	v_pk_fma_f32 v[14:15], v[14:15], v[24:25], v[32:33] op_sel:[0,0,1] op_sel_hi:[0,1,0]
	;; [unrolled: 2-line block ×5, first 2 shown]
	v_mov_b32_e32 v41, v3
	v_mov_b32_e32 v25, v11
	;; [unrolled: 1-line block ×5, first 2 shown]
	v_pk_add_f32 v[0:1], v[6:7], v[40:41]
	v_pk_add_f32 v[10:11], v[24:25], v[22:23]
	;; [unrolled: 1-line block ×3, first 2 shown]
	v_pk_add_f32 v[8:9], v[24:25], v[22:23] neg_lo:[0,1] neg_hi:[0,1]
	v_pk_add_f32 v[12:13], v[40:41], v[4:5]
	v_pk_add_f32 v[14:15], v[40:41], v[4:5] neg_lo:[0,1] neg_hi:[0,1]
	v_pk_add_f32 v[0:1], v[0:1], v[4:5]
	v_pk_fma_f32 v[4:5], v[10:11], 0.5, v[26:27] op_sel_hi:[1,0,1] neg_lo:[1,0,0] neg_hi:[1,0,0]
	v_pk_add_f32 v[2:3], v[2:3], v[22:23]
	v_pk_fma_f32 v[6:7], v[12:13], 0.5, v[6:7] op_sel_hi:[1,0,1] neg_lo:[1,0,0] neg_hi:[1,0,0]
	v_pk_mul_f32 v[10:11], v[14:15], s[2:3] op_sel_hi:[1,0]
	v_pk_fma_f32 v[14:15], v[8:9], s[2:3], v[4:5] op_sel:[0,0,1] op_sel_hi:[1,0,0]
	v_pk_fma_f32 v[4:5], v[8:9], s[2:3], v[4:5] op_sel:[0,0,1] op_sel_hi:[1,0,0] neg_lo:[1,0,0] neg_hi:[1,0,0]
	v_pk_add_f32 v[12:13], v[0:1], v[2:3]
	v_pk_add_f32 v[8:9], v[6:7], v[10:11] op_sel:[0,1] op_sel_hi:[1,0] neg_lo:[0,1] neg_hi:[0,1]
	v_pk_add_f32 v[6:7], v[6:7], v[10:11] op_sel:[0,1] op_sel_hi:[1,0]
	v_pk_add_f32 v[0:1], v[0:1], v[2:3] neg_lo:[0,1] neg_hi:[0,1]
	v_mov_b32_e32 v2, v14
	v_mov_b32_e32 v3, v5
	;; [unrolled: 1-line block ×4, first 2 shown]
	v_mul_f32_e32 v7, 0xbf5db3d7, v15
	v_mul_f32_e32 v8, 0x3f5db3d7, v4
	v_pk_mul_f32 v[22:23], v[2:3], 0.5 op_sel_hi:[1,0]
	v_fmac_f32_e32 v7, 0.5, v4
	v_fmac_f32_e32 v8, 0.5, v15
	v_pk_fma_f32 v[2:3], v[2:3], s[2:3], v[22:23] op_sel:[0,0,1] op_sel_hi:[1,1,0] neg_lo:[0,0,1] neg_hi:[0,0,1]
	v_sub_f32_e32 v5, v9, v7
	v_sub_f32_e32 v4, v6, v8
	v_add_f32_e32 v7, v9, v7
	v_add_f32_e32 v6, v6, v8
	v_pk_add_f32 v[8:9], v[10:11], v[2:3]
	ds_write2_b64 v31, v[12:13], v[6:7] offset1:26
	v_pk_add_f32 v[2:3], v[10:11], v[2:3] neg_lo:[0,1] neg_hi:[0,1]
	ds_write2_b64 v31, v[8:9], v[0:1] offset0:52 offset1:78
	ds_write2_b64 v31, v[4:5], v[2:3] offset0:104 offset1:130
.LBB0_23:
	s_or_b64 exec, exec, s[6:7]
	s_waitcnt lgkmcnt(0)
	s_barrier
	s_and_saveexec_b64 s[2:3], s[0:1]
	s_cbranch_execz .LBB0_25
; %bb.24:
	v_mul_u32_u24_e32 v0, 10, v18
	v_lshlrev_b32_e32 v0, 3, v0
	global_load_dwordx4 v[6:9], v0, s[4:5] offset:1144
	global_load_dwordx4 v[10:13], v0, s[4:5] offset:1208
	;; [unrolled: 1-line block ×5, first 2 shown]
	ds_read2_b64 v[0:3], v19 offset1:156
	ds_read_b64 v[44:45], v19 offset:12480
	ds_read_b64 v[46:47], v21
	ds_read_b64 v[30:31], v30
	v_add_u32_e32 v14, 0x2400, v19
	v_add_u32_e32 v18, 0x1c00, v19
	;; [unrolled: 1-line block ×3, first 2 shown]
	v_lshl_add_u64 v[4:5], v[16:17], 3, s[8:9]
	ds_read2_b64 v[14:17], v14 offset0:96 offset1:252
	ds_read2_b64 v[36:39], v18 offset0:40 offset1:196
	;; [unrolled: 1-line block ×3, first 2 shown]
	v_mov_b32_e32 v21, 0
	v_lshl_add_u64 v[4:5], v[20:21], 3, v[4:5]
	s_mov_b32 s12, 0x3f575c64
	s_mov_b32 s13, 0xbf0a6770
	;; [unrolled: 1-line block ×32, first 2 shown]
	s_waitcnt vmcnt(4) lgkmcnt(6)
	v_mul_f32_e32 v19, v6, v3
	v_mul_f32_e32 v3, v7, v3
	s_waitcnt vmcnt(3) lgkmcnt(5)
	v_pk_mul_f32 v[20:21], v[12:13], v[44:45] op_sel:[0,1]
	s_waitcnt lgkmcnt(4)
	v_pk_mul_f32 v[48:49], v[8:9], v[46:47] op_sel:[0,1]
	s_waitcnt lgkmcnt(2)
	v_pk_mul_f32 v[50:51], v[10:11], v[16:17] op_sel:[0,1]
	s_waitcnt vmcnt(2)
	v_pk_mul_f32 v[52:53], v[22:23], v[30:31] op_sel:[0,1]
	s_waitcnt vmcnt(1)
	v_pk_mul_f32 v[54:55], v[28:29], v[14:15] op_sel:[0,1]
	v_fmac_f32_e32 v19, v7, v2
	v_fma_f32 v18, v6, v2, -v3
	v_pk_fma_f32 v[64:65], v[12:13], v[44:45], v[20:21] op_sel:[0,0,1] op_sel_hi:[1,0,0] neg_lo:[0,0,1] neg_hi:[0,0,1]
	v_pk_fma_f32 v[6:7], v[12:13], v[44:45], v[20:21] op_sel:[0,0,1] op_sel_hi:[1,0,0]
	v_pk_fma_f32 v[20:21], v[8:9], v[46:47], v[48:49] op_sel:[0,0,1] op_sel_hi:[1,1,0] neg_lo:[0,0,1] neg_hi:[0,0,1]
	v_pk_fma_f32 v[8:9], v[8:9], v[46:47], v[48:49] op_sel:[0,0,1] op_sel_hi:[1,0,0]
	;; [unrolled: 2-line block ×5, first 2 shown]
	s_waitcnt lgkmcnt(0)
	v_pk_mul_f32 v[56:57], v[24:25], v[40:41] op_sel:[0,1]
	s_waitcnt vmcnt(0)
	v_pk_mul_f32 v[62:63], v[34:35], v[36:37] op_sel:[0,1]
	v_mov_b32_e32 v21, v9
	v_mov_b32_e32 v45, v11
	;; [unrolled: 1-line block ×3, first 2 shown]
	v_pk_add_f32 v[14:15], v[18:19], v[0:1]
	v_pk_mul_f32 v[58:59], v[26:27], v[38:39] op_sel:[0,1]
	v_pk_mul_f32 v[60:61], v[32:33], v[42:43] op_sel:[0,1]
	v_pk_fma_f32 v[28:29], v[24:25], v[40:41], v[56:57] op_sel:[0,0,1] op_sel_hi:[1,1,0] neg_lo:[0,0,1] neg_hi:[0,0,1]
	v_pk_fma_f32 v[24:25], v[24:25], v[40:41], v[56:57] op_sel:[0,0,1] op_sel_hi:[1,0,0]
	v_pk_fma_f32 v[40:41], v[34:35], v[36:37], v[62:63] op_sel:[0,0,1] op_sel_hi:[1,1,0] neg_lo:[0,0,1] neg_hi:[0,0,1]
	v_pk_fma_f32 v[34:35], v[34:35], v[36:37], v[62:63] op_sel:[0,0,1] op_sel_hi:[1,0,0]
	v_add_f32_e32 v3, v7, v19
	v_sub_f32_e32 v37, v18, v64
	v_mov_b32_e32 v17, v13
	v_add_f32_e32 v36, v64, v18
	v_sub_f32_e32 v2, v19, v7
	v_pk_add_f32 v[12:13], v[44:45], v[20:21]
	v_pk_add_f32 v[18:19], v[20:21], v[44:45] neg_lo:[0,1] neg_hi:[0,1]
	v_pk_add_f32 v[20:21], v[14:15], v[20:21]
	v_pk_fma_f32 v[30:31], v[26:27], v[38:39], v[58:59] op_sel:[0,0,1] op_sel_hi:[1,1,0] neg_lo:[0,0,1] neg_hi:[0,0,1]
	v_pk_fma_f32 v[26:27], v[26:27], v[38:39], v[58:59] op_sel:[0,0,1] op_sel_hi:[1,0,0]
	v_pk_fma_f32 v[38:39], v[32:33], v[42:43], v[60:61] op_sel:[0,0,1] op_sel_hi:[1,1,0] neg_lo:[0,0,1] neg_hi:[0,0,1]
	v_pk_fma_f32 v[32:33], v[32:33], v[42:43], v[60:61] op_sel:[0,0,1] op_sel_hi:[1,0,0]
	v_mov_b32_e32 v29, v25
	v_pk_add_f32 v[10:11], v[22:23], v[16:17]
	v_pk_add_f32 v[24:25], v[16:17], v[22:23] neg_lo:[0,1] neg_hi:[0,1]
	v_pk_add_f32 v[16:17], v[20:21], v[16:17]
	v_mov_b32_e32 v39, v33
	v_mov_b32_e32 v41, v35
	;; [unrolled: 1-line block ×5, first 2 shown]
	v_pk_add_f32 v[18:19], v[16:17], v[28:29]
	v_mov_b32_e32 v31, v27
	v_pk_add_f32 v[18:19], v[18:19], v[38:39]
	v_pk_add_f32 v[8:9], v[30:31], v[28:29]
	;; [unrolled: 1-line block ×3, first 2 shown]
	v_pk_add_f32 v[26:27], v[28:29], v[30:31] neg_lo:[0,1] neg_hi:[0,1]
	v_pk_mul_f32 v[14:15], v[36:37], s[12:13]
	v_pk_add_f32 v[18:19], v[30:31], v[18:19]
	v_mov_b32_e32 v65, v7
	v_pk_add_f32 v[6:7], v[40:41], v[38:39]
	v_pk_add_f32 v[32:33], v[38:39], v[40:41] neg_lo:[0,1] neg_hi:[0,1]
	v_pk_add_f32 v[18:19], v[22:23], v[18:19]
	v_mov_b32_e32 v38, v10
	v_mov_b32_e32 v39, v24
	v_mov_b32_e32 v10, v25
	v_mov_b32_e32 v40, v8
	v_mov_b32_e32 v41, v26
	v_mov_b32_e32 v8, v27
	v_pk_fma_f32 v[26:27], v[2:3], s[0:1], v[14:15] neg_lo:[1,0,0] neg_hi:[1,0,0]
	v_pk_fma_f32 v[24:25], v[2:3], s[0:1], v[14:15]
	v_pk_mul_f32 v[16:17], v[34:35], s[10:11]
	v_pk_add_f32 v[18:19], v[44:45], v[18:19]
	v_mov_b32_e32 v27, v25
	v_pk_add_f32 v[18:19], v[64:65], v[18:19]
	v_pk_add_f32 v[28:29], v[26:27], v[0:1]
	v_pk_fma_f32 v[30:31], v[12:13], s[2:3], v[16:17] neg_lo:[1,0,0] neg_hi:[1,0,0]
	v_pk_fma_f32 v[26:27], v[12:13], s[2:3], v[16:17]
	global_store_dwordx2 v[4:5], v[18:19], off
	v_pk_mul_f32 v[18:19], v[38:39], s[20:21]
	v_mov_b32_e32 v31, v27
	v_mov_b32_e32 v42, v6
	;; [unrolled: 1-line block ×4, first 2 shown]
	v_pk_add_f32 v[30:31], v[28:29], v[30:31]
	v_pk_fma_f32 v[32:33], v[10:11], s[4:5], v[18:19] neg_lo:[1,0,0] neg_hi:[1,0,0]
	v_pk_fma_f32 v[28:29], v[10:11], s[4:5], v[18:19]
	v_pk_mul_f32 v[20:21], v[40:41], s[22:23]
	v_mov_b32_e32 v33, v29
	v_pk_add_f32 v[32:33], v[30:31], v[32:33]
	v_pk_fma_f32 v[44:45], v[8:9], s[6:7], v[20:21] neg_lo:[1,0,0] neg_hi:[1,0,0]
	v_pk_fma_f32 v[30:31], v[8:9], s[6:7], v[20:21]
	v_pk_mul_f32 v[22:23], v[42:43], s[24:25]
	v_mov_b32_e32 v45, v31
	;; [unrolled: 5-line block ×3, first 2 shown]
	v_pk_add_f32 v[44:45], v[44:45], v[46:47]
	global_store_dwordx2 v[4:5], v[44:45], off offset:1248
	v_pk_mul_f32 v[44:45], v[36:37], s[10:11]
	v_pk_fma_f32 v[52:53], v[12:13], s[6:7], v[50:51] neg_lo:[1,0,0] neg_hi:[1,0,0]
	v_pk_fma_f32 v[46:47], v[2:3], s[2:3], v[44:45] neg_lo:[1,0,0] neg_hi:[1,0,0]
	v_pk_fma_f32 v[48:49], v[2:3], s[2:3], v[44:45]
	v_pk_fma_f32 v[54:55], v[12:13], s[6:7], v[50:51]
	v_mov_b32_e32 v47, v49
	v_pk_add_f32 v[46:47], v[46:47], v[0:1]
	v_mov_b32_e32 v53, v55
	v_pk_add_f32 v[46:47], v[46:47], v[52:53]
	v_pk_mul_f32 v[52:53], v[38:39], s[26:27]
	v_pk_mul_f32 v[70:71], v[34:35], s[26:27]
	v_pk_fma_f32 v[56:57], v[10:11], s[14:15], v[52:53] neg_lo:[1,0,0] neg_hi:[1,0,0]
	v_pk_fma_f32 v[58:59], v[10:11], s[14:15], v[52:53]
	v_pk_fma_f32 v[72:73], v[12:13], s[14:15], v[70:71] neg_lo:[1,0,0] neg_hi:[1,0,0]
	v_mov_b32_e32 v57, v59
	v_pk_add_f32 v[46:47], v[46:47], v[56:57]
	v_pk_mul_f32 v[56:57], v[40:41], s[28:29]
	v_pk_fma_f32 v[74:75], v[12:13], s[14:15], v[70:71]
	v_pk_fma_f32 v[60:61], v[8:9], s[16:17], v[56:57] neg_lo:[1,0,0] neg_hi:[1,0,0]
	v_pk_fma_f32 v[62:63], v[8:9], s[16:17], v[56:57]
	v_mov_b32_e32 v73, v75
	v_mov_b32_e32 v61, v63
	v_pk_add_f32 v[46:47], v[46:47], v[60:61]
	v_pk_mul_f32 v[60:61], v[42:43], s[30:31]
	s_mov_b32 s11, 0x3f68dda4
	v_pk_fma_f32 v[64:65], v[6:7], s[18:19], v[60:61] neg_lo:[1,0,0] neg_hi:[1,0,0]
	v_pk_fma_f32 v[66:67], v[6:7], s[18:19], v[60:61]
	s_mov_b32 s26, s11
	v_mov_b32_e32 v65, v67
	v_pk_add_f32 v[46:47], v[46:47], v[64:65]
	global_store_dwordx2 v[4:5], v[46:47], off offset:2496
	v_pk_mul_f32 v[46:47], v[36:37], s[20:21]
	s_mov_b32 s27, s10
	v_pk_fma_f32 v[64:65], v[2:3], s[4:5], v[46:47] neg_lo:[1,0,0] neg_hi:[1,0,0]
	v_pk_fma_f32 v[68:69], v[2:3], s[4:5], v[46:47]
	v_pk_mul_f32 v[90:91], v[34:35], s[28:29]
	v_mov_b32_e32 v65, v69
	v_pk_add_f32 v[64:65], v[64:65], v[0:1]
	v_pk_fma_f32 v[92:93], v[12:13], s[16:17], v[90:91] neg_lo:[1,0,0] neg_hi:[1,0,0]
	v_pk_add_f32 v[64:65], v[64:65], v[72:73]
	v_pk_mul_f32 v[72:73], v[38:39], s[10:11]
	v_pk_fma_f32 v[94:95], v[12:13], s[16:17], v[90:91]
	v_pk_fma_f32 v[76:77], v[10:11], s[26:27], v[72:73] neg_lo:[1,0,0] neg_hi:[1,0,0]
	v_pk_fma_f32 v[78:79], v[10:11], s[26:27], v[72:73]
	v_mov_b32_e32 v93, v95
	v_mov_b32_e32 v77, v79
	v_pk_add_f32 v[64:65], v[64:65], v[76:77]
	v_pk_mul_f32 v[76:77], v[40:41], s[12:13]
	v_pk_mul_f32 v[34:35], v[34:35], s[30:31]
	v_pk_fma_f32 v[80:81], v[8:9], s[0:1], v[76:77] neg_lo:[1,0,0] neg_hi:[1,0,0]
	v_pk_fma_f32 v[82:83], v[8:9], s[0:1], v[76:77]
	v_pk_fma_f32 v[110:111], v[12:13], s[18:19], v[34:35] neg_lo:[1,0,0] neg_hi:[1,0,0]
	v_mov_b32_e32 v81, v83
	v_pk_add_f32 v[64:65], v[64:65], v[80:81]
	v_pk_mul_f32 v[80:81], v[42:43], s[22:23]
	v_pk_fma_f32 v[112:113], v[12:13], s[18:19], v[34:35]
	v_pk_fma_f32 v[84:85], v[6:7], s[6:7], v[80:81] neg_lo:[1,0,0] neg_hi:[1,0,0]
	v_pk_fma_f32 v[86:87], v[6:7], s[6:7], v[80:81]
	v_mov_b32_e32 v111, v113
	v_mov_b32_e32 v85, v87
	v_pk_add_f32 v[64:65], v[64:65], v[84:85]
	global_store_dwordx2 v[4:5], v[64:65], off offset:3744
	v_pk_mul_f32 v[64:65], v[36:37], s[22:23]
	v_pk_mul_f32 v[36:37], v[36:37], s[24:25]
	v_pk_fma_f32 v[84:85], v[2:3], s[6:7], v[64:65] neg_lo:[1,0,0] neg_hi:[1,0,0]
	v_pk_fma_f32 v[88:89], v[2:3], s[6:7], v[64:65]
	v_pk_fma_f32 v[108:109], v[2:3], s[8:9], v[36:37]
	v_mov_b32_e32 v85, v89
	v_pk_add_f32 v[84:85], v[84:85], v[0:1]
	v_pk_fma_f32 v[34:35], v[12:13], s[18:19], v[34:35] neg_lo:[0,0,1] neg_hi:[0,0,1]
	v_pk_add_f32 v[84:85], v[84:85], v[92:93]
	v_pk_mul_f32 v[92:93], v[38:39], s[12:13]
	s_movk_i32 s12, 0x1000
	v_pk_fma_f32 v[96:97], v[10:11], s[0:1], v[92:93] neg_lo:[1,0,0] neg_hi:[1,0,0]
	v_pk_fma_f32 v[98:99], v[10:11], s[0:1], v[92:93]
	v_pk_mul_f32 v[38:39], v[38:39], s[22:23]
	v_mov_b32_e32 v97, v99
	v_pk_add_f32 v[84:85], v[84:85], v[96:97]
	v_pk_mul_f32 v[96:97], v[40:41], s[24:25]
	v_pk_fma_f32 v[114:115], v[10:11], s[6:7], v[38:39]
	v_pk_fma_f32 v[100:101], v[8:9], s[8:9], v[96:97] neg_lo:[1,0,0] neg_hi:[1,0,0]
	v_pk_fma_f32 v[102:103], v[8:9], s[8:9], v[96:97]
	v_pk_mul_f32 v[40:41], v[40:41], s[10:11]
	v_mov_b32_e32 v101, v103
	v_pk_add_f32 v[84:85], v[84:85], v[100:101]
	v_pk_mul_f32 v[100:101], v[42:43], s[10:11]
	v_mov_b32_e32 v113, v35
	v_pk_fma_f32 v[104:105], v[6:7], s[26:27], v[100:101] neg_lo:[1,0,0] neg_hi:[1,0,0]
	v_pk_fma_f32 v[106:107], v[6:7], s[26:27], v[100:101]
	v_pk_fma_f32 v[116:117], v[8:9], s[26:27], v[40:41]
	v_mov_b32_e32 v105, v107
	v_pk_add_f32 v[84:85], v[84:85], v[104:105]
	v_add_co_u32_e32 v104, vcc, s12, v4
	v_pk_mul_f32 v[42:43], v[42:43], s[20:21]
	s_nop 0
	v_addc_co_u32_e32 v105, vcc, 0, v5, vcc
	global_store_dwordx2 v[104:105], v[84:85], off offset:896
	v_pk_fma_f32 v[84:85], v[2:3], s[8:9], v[36:37] neg_lo:[1,0,0] neg_hi:[1,0,0]
	v_pk_fma_f32 v[36:37], v[2:3], s[8:9], v[36:37] neg_lo:[0,0,1] neg_hi:[0,0,1]
	v_mov_b32_e32 v85, v109
	v_pk_add_f32 v[84:85], v[84:85], v[0:1]
	v_mov_b32_e32 v109, v37
	v_pk_add_f32 v[84:85], v[84:85], v[110:111]
	v_pk_fma_f32 v[110:111], v[10:11], s[6:7], v[38:39] neg_lo:[1,0,0] neg_hi:[1,0,0]
	v_pk_add_f32 v[36:37], v[108:109], v[0:1]
	v_mov_b32_e32 v111, v115
	v_pk_add_f32 v[84:85], v[84:85], v[110:111]
	v_pk_fma_f32 v[110:111], v[8:9], s[26:27], v[40:41] neg_lo:[1,0,0] neg_hi:[1,0,0]
	v_pk_add_f32 v[34:35], v[36:37], v[112:113]
	v_pk_fma_f32 v[36:37], v[10:11], s[6:7], v[38:39] neg_lo:[0,0,1] neg_hi:[0,0,1]
	v_mov_b32_e32 v111, v117
	v_mov_b32_e32 v115, v37
	v_pk_fma_f32 v[36:37], v[8:9], s[26:27], v[40:41] neg_lo:[0,0,1] neg_hi:[0,0,1]
	v_pk_add_f32 v[84:85], v[84:85], v[110:111]
	v_pk_fma_f32 v[110:111], v[6:7], s[4:5], v[42:43] neg_lo:[1,0,0] neg_hi:[1,0,0]
	v_pk_fma_f32 v[118:119], v[6:7], s[4:5], v[42:43]
	v_pk_add_f32 v[34:35], v[34:35], v[114:115]
	v_mov_b32_e32 v117, v37
	v_pk_fma_f32 v[36:37], v[6:7], s[4:5], v[42:43] neg_lo:[0,0,1] neg_hi:[0,0,1]
	v_mov_b32_e32 v111, v119
	v_pk_add_f32 v[34:35], v[34:35], v[116:117]
	v_mov_b32_e32 v119, v37
	v_pk_add_f32 v[34:35], v[34:35], v[118:119]
	global_store_dwordx2 v[104:105], v[34:35], off offset:3392
	v_pk_fma_f32 v[34:35], v[2:3], s[6:7], v[64:65] neg_lo:[0,0,1] neg_hi:[0,0,1]
	v_pk_fma_f32 v[36:37], v[12:13], s[16:17], v[90:91] neg_lo:[0,0,1] neg_hi:[0,0,1]
	v_mov_b32_e32 v89, v35
	v_pk_add_f32 v[34:35], v[88:89], v[0:1]
	v_mov_b32_e32 v95, v37
	v_pk_fma_f32 v[36:37], v[10:11], s[0:1], v[92:93] neg_lo:[0,0,1] neg_hi:[0,0,1]
	v_pk_add_f32 v[34:35], v[34:35], v[94:95]
	v_mov_b32_e32 v99, v37
	v_pk_fma_f32 v[36:37], v[8:9], s[8:9], v[96:97] neg_lo:[0,0,1] neg_hi:[0,0,1]
	;; [unrolled: 3-line block ×3, first 2 shown]
	s_movk_i32 s10, 0x2000
	v_pk_add_f32 v[34:35], v[34:35], v[102:103]
	v_mov_b32_e32 v107, v37
	v_add_co_u32_e32 v36, vcc, s10, v4
	v_pk_add_f32 v[34:35], v[34:35], v[106:107]
	s_nop 0
	v_addc_co_u32_e32 v37, vcc, 0, v5, vcc
	global_store_dwordx2 v[36:37], v[34:35], off offset:544
	v_pk_fma_f32 v[34:35], v[2:3], s[4:5], v[46:47] neg_lo:[0,0,1] neg_hi:[0,0,1]
	v_pk_fma_f32 v[38:39], v[12:13], s[14:15], v[70:71] neg_lo:[0,0,1] neg_hi:[0,0,1]
	v_mov_b32_e32 v69, v35
	v_pk_add_f32 v[34:35], v[68:69], v[0:1]
	v_mov_b32_e32 v75, v39
	v_pk_fma_f32 v[38:39], v[10:11], s[26:27], v[72:73] neg_lo:[0,0,1] neg_hi:[0,0,1]
	v_pk_add_f32 v[34:35], v[34:35], v[74:75]
	v_mov_b32_e32 v79, v39
	v_pk_fma_f32 v[38:39], v[8:9], s[0:1], v[76:77] neg_lo:[0,0,1] neg_hi:[0,0,1]
	;; [unrolled: 3-line block ×3, first 2 shown]
	v_pk_add_f32 v[34:35], v[34:35], v[82:83]
	v_mov_b32_e32 v87, v39
	v_pk_add_f32 v[34:35], v[34:35], v[86:87]
	global_store_dwordx2 v[36:37], v[34:35], off offset:1792
	v_pk_fma_f32 v[34:35], v[2:3], s[2:3], v[44:45] neg_lo:[0,0,1] neg_hi:[0,0,1]
	v_pk_fma_f32 v[2:3], v[2:3], s[0:1], v[14:15] neg_lo:[0,0,1] neg_hi:[0,0,1]
	v_mov_b32_e32 v49, v35
	v_pk_fma_f32 v[38:39], v[12:13], s[6:7], v[50:51] neg_lo:[0,0,1] neg_hi:[0,0,1]
	v_mov_b32_e32 v25, v3
	v_pk_fma_f32 v[2:3], v[12:13], s[2:3], v[16:17] neg_lo:[0,0,1] neg_hi:[0,0,1]
	v_pk_add_f32 v[34:35], v[48:49], v[0:1]
	v_mov_b32_e32 v55, v39
	v_pk_fma_f32 v[38:39], v[10:11], s[14:15], v[52:53] neg_lo:[0,0,1] neg_hi:[0,0,1]
	v_pk_add_f32 v[0:1], v[24:25], v[0:1]
	;; [unrolled: 3-line block ×7, first 2 shown]
	v_mov_b32_e32 v67, v39
	v_pk_add_f32 v[0:1], v[0:1], v[30:31]
	v_mov_b32_e32 v33, v3
	v_add_co_u32_e32 v2, vcc, 0x3000, v4
	v_pk_add_f32 v[84:85], v[84:85], v[110:111]
	v_pk_add_f32 v[34:35], v[34:35], v[66:67]
	;; [unrolled: 1-line block ×3, first 2 shown]
	v_addc_co_u32_e32 v3, vcc, 0, v5, vcc
	global_store_dwordx2 v[104:105], v[84:85], off offset:2144
	global_store_dwordx2 v[36:37], v[34:35], off offset:3040
	;; [unrolled: 1-line block ×3, first 2 shown]
.LBB0_25:
	s_endpgm
	.section	.rodata,"a",@progbits
	.p2align	6, 0x0
	.amdhsa_kernel fft_rtc_fwd_len1716_factors_13_2_6_11_wgs_156_tpt_156_sp_ip_CI_unitstride_sbrr_dirReg
		.amdhsa_group_segment_fixed_size 0
		.amdhsa_private_segment_fixed_size 0
		.amdhsa_kernarg_size 88
		.amdhsa_user_sgpr_count 2
		.amdhsa_user_sgpr_dispatch_ptr 0
		.amdhsa_user_sgpr_queue_ptr 0
		.amdhsa_user_sgpr_kernarg_segment_ptr 1
		.amdhsa_user_sgpr_dispatch_id 0
		.amdhsa_user_sgpr_kernarg_preload_length 0
		.amdhsa_user_sgpr_kernarg_preload_offset 0
		.amdhsa_user_sgpr_private_segment_size 0
		.amdhsa_uses_dynamic_stack 0
		.amdhsa_enable_private_segment 0
		.amdhsa_system_sgpr_workgroup_id_x 1
		.amdhsa_system_sgpr_workgroup_id_y 0
		.amdhsa_system_sgpr_workgroup_id_z 0
		.amdhsa_system_sgpr_workgroup_info 0
		.amdhsa_system_vgpr_workitem_id 0
		.amdhsa_next_free_vgpr 128
		.amdhsa_next_free_sgpr 48
		.amdhsa_accum_offset 128
		.amdhsa_reserve_vcc 1
		.amdhsa_float_round_mode_32 0
		.amdhsa_float_round_mode_16_64 0
		.amdhsa_float_denorm_mode_32 3
		.amdhsa_float_denorm_mode_16_64 3
		.amdhsa_dx10_clamp 1
		.amdhsa_ieee_mode 1
		.amdhsa_fp16_overflow 0
		.amdhsa_tg_split 0
		.amdhsa_exception_fp_ieee_invalid_op 0
		.amdhsa_exception_fp_denorm_src 0
		.amdhsa_exception_fp_ieee_div_zero 0
		.amdhsa_exception_fp_ieee_overflow 0
		.amdhsa_exception_fp_ieee_underflow 0
		.amdhsa_exception_fp_ieee_inexact 0
		.amdhsa_exception_int_div_zero 0
	.end_amdhsa_kernel
	.text
.Lfunc_end0:
	.size	fft_rtc_fwd_len1716_factors_13_2_6_11_wgs_156_tpt_156_sp_ip_CI_unitstride_sbrr_dirReg, .Lfunc_end0-fft_rtc_fwd_len1716_factors_13_2_6_11_wgs_156_tpt_156_sp_ip_CI_unitstride_sbrr_dirReg
                                        ; -- End function
	.section	.AMDGPU.csdata,"",@progbits
; Kernel info:
; codeLenInByte = 8596
; NumSgprs: 54
; NumVgprs: 128
; NumAgprs: 0
; TotalNumVgprs: 128
; ScratchSize: 0
; MemoryBound: 0
; FloatMode: 240
; IeeeMode: 1
; LDSByteSize: 0 bytes/workgroup (compile time only)
; SGPRBlocks: 6
; VGPRBlocks: 15
; NumSGPRsForWavesPerEU: 54
; NumVGPRsForWavesPerEU: 128
; AccumOffset: 128
; Occupancy: 4
; WaveLimiterHint : 1
; COMPUTE_PGM_RSRC2:SCRATCH_EN: 0
; COMPUTE_PGM_RSRC2:USER_SGPR: 2
; COMPUTE_PGM_RSRC2:TRAP_HANDLER: 0
; COMPUTE_PGM_RSRC2:TGID_X_EN: 1
; COMPUTE_PGM_RSRC2:TGID_Y_EN: 0
; COMPUTE_PGM_RSRC2:TGID_Z_EN: 0
; COMPUTE_PGM_RSRC2:TIDIG_COMP_CNT: 0
; COMPUTE_PGM_RSRC3_GFX90A:ACCUM_OFFSET: 31
; COMPUTE_PGM_RSRC3_GFX90A:TG_SPLIT: 0
	.text
	.p2alignl 6, 3212836864
	.fill 256, 4, 3212836864
	.type	__hip_cuid_269aafc117dc79c8,@object ; @__hip_cuid_269aafc117dc79c8
	.section	.bss,"aw",@nobits
	.globl	__hip_cuid_269aafc117dc79c8
__hip_cuid_269aafc117dc79c8:
	.byte	0                               ; 0x0
	.size	__hip_cuid_269aafc117dc79c8, 1

	.ident	"AMD clang version 19.0.0git (https://github.com/RadeonOpenCompute/llvm-project roc-6.4.0 25133 c7fe45cf4b819c5991fe208aaa96edf142730f1d)"
	.section	".note.GNU-stack","",@progbits
	.addrsig
	.addrsig_sym __hip_cuid_269aafc117dc79c8
	.amdgpu_metadata
---
amdhsa.kernels:
  - .agpr_count:     0
    .args:
      - .actual_access:  read_only
        .address_space:  global
        .offset:         0
        .size:           8
        .value_kind:     global_buffer
      - .offset:         8
        .size:           8
        .value_kind:     by_value
      - .actual_access:  read_only
        .address_space:  global
        .offset:         16
        .size:           8
        .value_kind:     global_buffer
      - .actual_access:  read_only
        .address_space:  global
        .offset:         24
        .size:           8
        .value_kind:     global_buffer
      - .offset:         32
        .size:           8
        .value_kind:     by_value
      - .actual_access:  read_only
        .address_space:  global
        .offset:         40
        .size:           8
        .value_kind:     global_buffer
      - .actual_access:  read_only
        .address_space:  global
        .offset:         48
        .size:           8
        .value_kind:     global_buffer
      - .offset:         56
        .size:           4
        .value_kind:     by_value
      - .actual_access:  read_only
        .address_space:  global
        .offset:         64
        .size:           8
        .value_kind:     global_buffer
      - .actual_access:  read_only
        .address_space:  global
        .offset:         72
        .size:           8
        .value_kind:     global_buffer
      - .address_space:  global
        .offset:         80
        .size:           8
        .value_kind:     global_buffer
    .group_segment_fixed_size: 0
    .kernarg_segment_align: 8
    .kernarg_segment_size: 88
    .language:       OpenCL C
    .language_version:
      - 2
      - 0
    .max_flat_workgroup_size: 156
    .name:           fft_rtc_fwd_len1716_factors_13_2_6_11_wgs_156_tpt_156_sp_ip_CI_unitstride_sbrr_dirReg
    .private_segment_fixed_size: 0
    .sgpr_count:     54
    .sgpr_spill_count: 0
    .symbol:         fft_rtc_fwd_len1716_factors_13_2_6_11_wgs_156_tpt_156_sp_ip_CI_unitstride_sbrr_dirReg.kd
    .uniform_work_group_size: 1
    .uses_dynamic_stack: false
    .vgpr_count:     128
    .vgpr_spill_count: 0
    .wavefront_size: 64
amdhsa.target:   amdgcn-amd-amdhsa--gfx950
amdhsa.version:
  - 1
  - 2
...

	.end_amdgpu_metadata
